;; amdgpu-corpus repo=ROCm/rocFFT kind=compiled arch=gfx906 opt=O3
	.text
	.amdgcn_target "amdgcn-amd-amdhsa--gfx906"
	.amdhsa_code_object_version 6
	.protected	fft_rtc_fwd_len104_factors_2_13_2_2_wgs_208_tpt_26_halfLds_dim2_sp_ip_CI_sbcc_twdbase8_2step_dirReg ; -- Begin function fft_rtc_fwd_len104_factors_2_13_2_2_wgs_208_tpt_26_halfLds_dim2_sp_ip_CI_sbcc_twdbase8_2step_dirReg
	.globl	fft_rtc_fwd_len104_factors_2_13_2_2_wgs_208_tpt_26_halfLds_dim2_sp_ip_CI_sbcc_twdbase8_2step_dirReg
	.p2align	8
	.type	fft_rtc_fwd_len104_factors_2_13_2_2_wgs_208_tpt_26_halfLds_dim2_sp_ip_CI_sbcc_twdbase8_2step_dirReg,@function
fft_rtc_fwd_len104_factors_2_13_2_2_wgs_208_tpt_26_halfLds_dim2_sp_ip_CI_sbcc_twdbase8_2step_dirReg: ; @fft_rtc_fwd_len104_factors_2_13_2_2_wgs_208_tpt_26_halfLds_dim2_sp_ip_CI_sbcc_twdbase8_2step_dirReg
; %bb.0:
	s_load_dwordx4 s[0:3], s[4:5], 0x10
	s_mov_b32 s7, 0
	s_mov_b64 s[18:19], -1
	s_mov_b64 s[20:21], 0
	s_waitcnt lgkmcnt(0)
	s_load_dwordx2 s[16:17], s[0:1], 0x8
	s_load_dwordx2 s[14:15], s[4:5], 0x50
	;; [unrolled: 1-line block ×3, first 2 shown]
	s_waitcnt lgkmcnt(0)
	s_add_u32 s0, s16, -1
	s_addc_u32 s1, s17, -1
	s_lshr_b64 s[0:1], s[0:1], 3
	s_add_u32 s0, s0, 1
	s_addc_u32 s1, s1, 0
	v_mov_b32_e32 v2, s1
	v_mov_b32_e32 v1, s0
	v_cmp_lt_u64_e32 vcc, s[6:7], v[1:2]
	s_cbranch_vccnz .LBB0_2
; %bb.1:
	v_cvt_f32_u32_e32 v1, s0
	s_sub_i32 s7, 0, s0
	v_rcp_iflag_f32_e32 v1, v1
	v_mul_f32_e32 v1, 0x4f7ffffe, v1
	v_cvt_u32_f32_e32 v1, v1
	v_readfirstlane_b32 s8, v1
	s_mul_i32 s7, s7, s8
	s_mul_hi_u32 s7, s8, s7
	s_add_i32 s8, s8, s7
	s_mul_hi_u32 s7, s6, s8
	s_mul_i32 s9, s7, s0
	s_sub_i32 s9, s6, s9
	s_add_i32 s8, s7, 1
	s_sub_i32 s10, s9, s0
	s_cmp_ge_u32 s9, s0
	s_cselect_b32 s7, s8, s7
	s_cselect_b32 s9, s10, s9
	s_add_i32 s8, s7, 1
	s_cmp_ge_u32 s9, s0
	s_cselect_b32 s20, s8, s7
.LBB0_2:
	s_mul_i32 s1, s20, s1
	s_mul_hi_u32 s7, s20, s0
	s_load_dwordx4 s[8:11], s[2:3], 0x8
	s_add_i32 s7, s7, s1
	s_mul_i32 s0, s20, s0
	s_sub_u32 s0, s6, s0
	s_subb_u32 s1, 0, s7
	v_mov_b32_e32 v1, s0
	s_lshl_b64 s[6:7], s[0:1], 3
	v_alignbit_b32 v1, s1, v1, 29
	v_readfirstlane_b32 s0, v1
	s_waitcnt lgkmcnt(0)
	s_mul_i32 s1, s6, s9
	s_mul_hi_u32 s2, s6, s8
	s_mul_i32 s0, s0, s8
	s_add_i32 s1, s2, s1
	s_mul_i32 s2, s11, s20
	s_mul_hi_u32 s3, s10, s20
	s_add_i32 s1, s1, s0
	s_mul_i32 s0, s6, s8
	s_add_i32 s3, s3, s2
	s_mul_i32 s2, s10, s20
	s_add_u32 s2, s2, s0
	s_addc_u32 s3, s3, s1
	v_and_b32_e32 v27, 7, v0
	v_or_b32_e32 v1, s6, v27
	s_add_u32 s6, s6, 8
	v_mov_b32_e32 v3, s16
	v_mov_b32_e32 v2, s7
	s_addc_u32 s7, s7, 0
	v_mov_b32_e32 v4, s17
	v_cmp_gt_u64_e32 vcc, s[6:7], v[3:4]
	v_cmp_le_u64_e64 s[0:1], s[6:7], v[3:4]
	v_lshrrev_b32_e32 v28, 3, v0
	s_cbranch_vccz .LBB0_8
; %bb.3:
	v_cmp_le_u64_e32 vcc, s[16:17], v[1:2]
                                        ; implicit-def: $vgpr29
	s_and_saveexec_b64 s[6:7], vcc
	s_xor_b64 s[6:7], exec, s[6:7]
; %bb.4:
	v_add_u32_e32 v29, 26, v28
; %bb.5:
	s_or_saveexec_b64 s[6:7], s[6:7]
                                        ; implicit-def: $vgpr20
                                        ; implicit-def: $vgpr16
                                        ; implicit-def: $vgpr3
                                        ; implicit-def: $vgpr18
	s_xor_b64 exec, exec, s[6:7]
	s_cbranch_execz .LBB0_7
; %bb.6:
	v_mad_u64_u32 v[3:4], s[10:11], s8, v27, 0
	v_mad_u64_u32 v[5:6], s[10:11], s12, v28, 0
	v_add_u32_e32 v10, 52, v28
	v_add_u32_e32 v29, 26, v28
	v_mad_u64_u32 v[7:8], s[10:11], s9, v27, v[4:5]
	v_mov_b32_e32 v4, v6
	v_mad_u64_u32 v[8:9], s[10:11], s13, v28, v[4:5]
	s_lshl_b64 s[10:11], s[2:3], 3
	s_add_u32 s18, s14, s10
	s_addc_u32 s10, s15, s11
	v_mov_b32_e32 v4, v7
	v_mov_b32_e32 v6, v8
	;; [unrolled: 1-line block ×3, first 2 shown]
	v_mad_u64_u32 v[7:8], s[10:11], s12, v10, 0
	v_lshlrev_b64 v[3:4], 3, v[3:4]
	v_add_co_u32_e32 v15, vcc, s18, v3
	v_addc_co_u32_e32 v16, vcc, v9, v4, vcc
	v_lshlrev_b64 v[3:4], 3, v[5:6]
	v_mov_b32_e32 v5, v8
	v_mad_u64_u32 v[5:6], s[10:11], s13, v10, v[5:6]
	v_mad_u64_u32 v[9:10], s[10:11], s12, v29, 0
	v_add_co_u32_e32 v11, vcc, v15, v3
	v_mov_b32_e32 v8, v5
	v_mov_b32_e32 v5, v10
	v_addc_co_u32_e32 v12, vcc, v16, v4, vcc
	v_lshlrev_b64 v[3:4], 3, v[7:8]
	v_mad_u64_u32 v[5:6], s[10:11], s13, v29, v[5:6]
	v_add_u32_e32 v8, 0x4e, v28
	v_mad_u64_u32 v[6:7], s[10:11], s12, v8, 0
	v_mov_b32_e32 v10, v5
	v_add_co_u32_e32 v13, vcc, v15, v3
	v_mov_b32_e32 v5, v7
	v_mad_u64_u32 v[7:8], s[10:11], s13, v8, v[5:6]
	v_addc_co_u32_e32 v14, vcc, v16, v4, vcc
	v_lshlrev_b64 v[3:4], 3, v[9:10]
	v_add_co_u32_e32 v8, vcc, v15, v3
	v_addc_co_u32_e32 v9, vcc, v16, v4, vcc
	v_lshlrev_b64 v[3:4], 3, v[6:7]
	v_add_co_u32_e32 v5, vcc, v15, v3
	v_addc_co_u32_e32 v6, vcc, v16, v4, vcc
	global_load_dwordx2 v[18:19], v[11:12], off
	global_load_dwordx2 v[3:4], v[13:14], off
	;; [unrolled: 1-line block ×4, first 2 shown]
.LBB0_7:
	s_or_b64 exec, exec, s[6:7]
	s_cbranch_execz .LBB0_9
	s_branch .LBB0_10
.LBB0_8:
                                        ; implicit-def: $vgpr20
                                        ; implicit-def: $vgpr16
                                        ; implicit-def: $vgpr3
                                        ; implicit-def: $vgpr18
                                        ; implicit-def: $vgpr29
	s_andn2_b64 vcc, exec, s[18:19]
	s_cbranch_vccnz .LBB0_10
.LBB0_9:
	s_waitcnt vmcnt(2)
	v_mad_u64_u32 v[3:4], s[6:7], s8, v27, 0
	v_mad_u64_u32 v[5:6], s[6:7], s12, v28, 0
	v_add_u32_e32 v10, 52, v28
	v_add_u32_e32 v29, 26, v28
	v_mad_u64_u32 v[7:8], s[6:7], s9, v27, v[4:5]
	v_mov_b32_e32 v4, v6
	v_mad_u64_u32 v[8:9], s[6:7], s13, v28, v[4:5]
	s_lshl_b64 s[6:7], s[2:3], 3
	s_add_u32 s10, s14, s6
	s_addc_u32 s6, s15, s7
	v_mov_b32_e32 v4, v7
	v_mov_b32_e32 v6, v8
	;; [unrolled: 1-line block ×3, first 2 shown]
	v_mad_u64_u32 v[7:8], s[6:7], s12, v10, 0
	v_lshlrev_b64 v[3:4], 3, v[3:4]
	v_add_co_u32_e32 v15, vcc, s10, v3
	s_waitcnt vmcnt(1)
	v_addc_co_u32_e32 v16, vcc, v9, v4, vcc
	v_lshlrev_b64 v[3:4], 3, v[5:6]
	v_mov_b32_e32 v5, v8
	v_mad_u64_u32 v[5:6], s[6:7], s13, v10, v[5:6]
	v_mad_u64_u32 v[9:10], s[6:7], s12, v29, 0
	v_add_co_u32_e32 v11, vcc, v15, v3
	v_mov_b32_e32 v8, v5
	v_mov_b32_e32 v5, v10
	v_addc_co_u32_e32 v12, vcc, v16, v4, vcc
	v_lshlrev_b64 v[3:4], 3, v[7:8]
	v_mad_u64_u32 v[5:6], s[6:7], s13, v29, v[5:6]
	v_add_u32_e32 v8, 0x4e, v28
	v_mad_u64_u32 v[6:7], s[6:7], s12, v8, 0
	v_mov_b32_e32 v10, v5
	v_add_co_u32_e32 v13, vcc, v15, v3
	v_mov_b32_e32 v5, v7
	v_mad_u64_u32 v[7:8], s[6:7], s13, v8, v[5:6]
	v_addc_co_u32_e32 v14, vcc, v16, v4, vcc
	v_lshlrev_b64 v[3:4], 3, v[9:10]
	v_add_co_u32_e32 v8, vcc, v15, v3
	v_addc_co_u32_e32 v9, vcc, v16, v4, vcc
	v_lshlrev_b64 v[3:4], 3, v[6:7]
	v_add_co_u32_e32 v5, vcc, v15, v3
	v_addc_co_u32_e32 v6, vcc, v16, v4, vcc
	global_load_dwordx2 v[18:19], v[11:12], off
	global_load_dwordx2 v[3:4], v[13:14], off
	;; [unrolled: 1-line block ×4, first 2 shown]
.LBB0_10:
	s_load_dwordx2 s[6:7], s[4:5], 0x0
	s_waitcnt vmcnt(2)
	v_sub_f32_e32 v6, v18, v3
	v_lshlrev_b32_e32 v3, 6, v28
	v_lshlrev_b32_e32 v30, 2, v27
	s_waitcnt vmcnt(0)
	v_sub_f32_e32 v8, v16, v20
	v_add3_u32 v20, 0, v3, v30
	v_lshlrev_b32_e32 v3, 6, v29
	v_fma_f32 v5, v18, 2.0, -v6
	v_fma_f32 v7, v16, 2.0, -v8
	v_add3_u32 v22, 0, v3, v30
	v_cmp_gt_u32_e32 vcc, 64, v0
	v_and_b32_e32 v23, 56, v0
	ds_write2_b32 v20, v5, v6 offset1:8
	ds_write2_b32 v22, v7, v8 offset1:8
	s_waitcnt lgkmcnt(0)
	s_barrier
	s_waitcnt lgkmcnt(0)
                                        ; implicit-def: $vgpr32
                                        ; implicit-def: $vgpr9
                                        ; implicit-def: $vgpr11
                                        ; implicit-def: $vgpr16
                                        ; implicit-def: $vgpr14
	s_and_saveexec_b64 s[10:11], vcc
	s_cbranch_execz .LBB0_12
; %bb.11:
	v_lshlrev_b32_e32 v3, 2, v23
	v_add3_u32 v3, 0, v3, v30
	ds_read2st64_b32 v[5:6], v3 offset1:1
	ds_read2st64_b32 v[7:8], v3 offset0:2 offset1:3
	ds_read2st64_b32 v[9:10], v3 offset0:4 offset1:5
	;; [unrolled: 1-line block ×5, first 2 shown]
	ds_read_b32 v32, v3 offset:3072
.LBB0_12:
	s_or_b64 exec, exec, s[10:11]
	v_sub_f32_e32 v4, v19, v4
	v_sub_f32_e32 v18, v17, v21
	v_fma_f32 v3, v19, 2.0, -v4
	v_fma_f32 v17, v17, 2.0, -v18
	s_waitcnt lgkmcnt(0)
	s_barrier
	ds_write2_b32 v20, v3, v4 offset1:8
	ds_write2_b32 v22, v17, v18 offset1:8
	s_waitcnt lgkmcnt(0)
	s_barrier
	s_waitcnt lgkmcnt(0)
                                        ; implicit-def: $vgpr35
                                        ; implicit-def: $vgpr26
                                        ; implicit-def: $vgpr24
                                        ; implicit-def: $vgpr22
                                        ; implicit-def: $vgpr20
	s_and_saveexec_b64 s[10:11], vcc
	s_cbranch_execz .LBB0_14
; %bb.13:
	v_lshlrev_b32_e32 v3, 2, v23
	v_add3_u32 v31, 0, v3, v30
	ds_read2st64_b32 v[3:4], v31 offset1:1
	ds_read2st64_b32 v[17:18], v31 offset0:2 offset1:3
	ds_read2st64_b32 v[19:20], v31 offset0:4 offset1:5
	;; [unrolled: 1-line block ×5, first 2 shown]
	ds_read_b32 v35, v31 offset:3072
.LBB0_14:
	s_or_b64 exec, exec, s[10:11]
	v_bfe_u32 v31, v0, 3, 1
	v_mul_u32_u24_e32 v33, 12, v31
	v_lshlrev_b32_e32 v33, 3, v33
	global_load_dwordx4 v[41:44], v33, s[6:7] offset:80
	global_load_dwordx4 v[45:48], v33, s[6:7] offset:64
	;; [unrolled: 1-line block ×5, first 2 shown]
	global_load_dwordx4 v[61:64], v33, s[6:7]
	s_waitcnt vmcnt(0) lgkmcnt(0)
	s_barrier
	v_mul_f32_e32 v37, v35, v44
	v_mul_f32_e32 v39, v32, v44
	;; [unrolled: 1-line block ×9, first 2 shown]
	v_fma_f32 v40, v32, v43, -v37
	v_fmac_f32_e32 v39, v35, v43
	v_mul_f32_e32 v32, v13, v52
	v_fma_f32 v37, v16, v41, -v38
	v_fmac_f32_e32 v36, v26, v41
	v_mul_f32_e32 v43, v22, v50
	v_mul_f32_e32 v16, v12, v50
	;; [unrolled: 1-line block ×4, first 2 shown]
	v_fma_f32 v35, v15, v47, -v42
	v_mul_f32_e32 v42, v20, v54
	v_mul_f32_e32 v15, v10, v54
	v_fmac_f32_e32 v34, v25, v47
	v_mul_f32_e32 v47, v19, v60
	v_mul_f32_e32 v25, v9, v60
	v_fma_f32 v14, v14, v45, -v44
	v_fmac_f32_e32 v33, v24, v45
	v_mul_f32_e32 v44, v18, v58
	v_mul_f32_e32 v24, v8, v58
	;; [unrolled: 1-line block ×4, first 2 shown]
	v_fma_f32 v13, v13, v51, -v46
	v_mul_f32_e32 v46, v4, v62
	v_mul_f32_e32 v41, v6, v62
	v_fmac_f32_e32 v32, v23, v51
	v_fma_f32 v12, v12, v49, -v43
	v_fmac_f32_e32 v16, v22, v49
	v_fma_f32 v11, v11, v55, -v48
	;; [unrolled: 2-line block ×7, first 2 shown]
	v_fmac_f32_e32 v41, v4, v61
	v_lshrrev_b32_e32 v6, 4, v0
	s_and_saveexec_b64 s[10:11], vcc
	s_cbranch_execz .LBB0_16
; %bb.15:
	v_sub_f32_e32 v21, v41, v39
	v_mul_f32_e32 v18, 0xbe750f2a, v21
	v_sub_f32_e32 v23, v38, v36
	v_add_f32_e32 v20, v17, v40
	v_mov_b32_e32 v4, v18
	v_mul_f32_e32 v19, 0x3eedf032, v23
	v_fmac_f32_e32 v4, 0xbf788fa5, v20
	v_add_f32_e32 v22, v7, v37
	v_mov_b32_e32 v42, v19
	v_sub_f32_e32 v43, v24, v34
	v_add_f32_e32 v4, v5, v4
	v_fmac_f32_e32 v42, 0x3f62ad3f, v22
	v_mul_f32_e32 v44, 0xbf29c268, v43
	v_add_f32_e32 v4, v42, v4
	v_add_f32_e32 v42, v8, v35
	v_mov_b32_e32 v45, v44
	v_sub_f32_e32 v46, v25, v33
	v_fmac_f32_e32 v45, 0xbf3f9e67, v42
	v_mul_f32_e32 v47, 0x3f52af12, v46
	s_mov_b32 s18, 0xbf788fa5
	v_add_f32_e32 v4, v45, v4
	v_add_f32_e32 v45, v9, v14
	v_mov_b32_e32 v48, v47
	v_sub_f32_e32 v49, v15, v32
	s_mov_b32 s20, 0x3f62ad3f
	v_fma_f32 v18, v20, s18, -v18
	v_fmac_f32_e32 v48, 0x3f116cb1, v45
	v_mul_f32_e32 v50, 0xbf6f5d39, v49
	v_add_f32_e32 v18, v5, v18
	v_fma_f32 v19, v22, s20, -v19
	s_mov_b32 s19, 0xbf3f9e67
	v_add_f32_e32 v4, v48, v4
	v_add_f32_e32 v48, v10, v13
	v_mov_b32_e32 v51, v50
	v_add_f32_e32 v18, v19, v18
	v_fma_f32 v19, v42, s19, -v44
	s_mov_b32 s23, 0x3f116cb1
	v_fmac_f32_e32 v51, 0xbeb58ec6, v48
	v_sub_f32_e32 v52, v26, v16
	v_add_f32_e32 v18, v19, v18
	v_fma_f32 v19, v45, s23, -v47
	s_mov_b32 s21, 0xbeb58ec6
	v_add_f32_e32 v4, v51, v4
	v_add_f32_e32 v51, v11, v12
	v_mul_f32_e32 v53, 0x3f7e222b, v52
	v_add_f32_e32 v18, v19, v18
	v_fma_f32 v19, v48, s21, -v50
	s_mov_b32 s22, 0x3df6dbef
	v_add_f32_e32 v18, v19, v18
	v_fma_f32 v19, v51, s22, -v53
	v_mul_f32_e32 v44, 0xbf29c268, v21
	v_add_f32_e32 v18, v19, v18
	v_mov_b32_e32 v19, v44
	v_mul_f32_e32 v47, 0x3f7e222b, v23
	v_fmac_f32_e32 v19, 0xbf3f9e67, v20
	v_mov_b32_e32 v50, v47
	v_add_f32_e32 v19, v5, v19
	v_fmac_f32_e32 v50, 0x3df6dbef, v22
	v_add_f32_e32 v19, v50, v19
	v_mul_f32_e32 v50, 0xbf52af12, v43
	v_mov_b32_e32 v54, v53
	v_mov_b32_e32 v53, v50
	v_fmac_f32_e32 v53, 0x3f116cb1, v42
	v_fmac_f32_e32 v54, 0x3df6dbef, v51
	v_add_f32_e32 v19, v53, v19
	v_mul_f32_e32 v53, 0x3e750f2a, v46
	v_add_f32_e32 v4, v54, v4
	v_mov_b32_e32 v54, v53
	v_fmac_f32_e32 v54, 0xbf788fa5, v45
	v_fma_f32 v44, v20, s19, -v44
	v_add_f32_e32 v19, v54, v19
	v_mul_f32_e32 v54, 0x3eedf032, v49
	v_add_f32_e32 v44, v5, v44
	v_fma_f32 v47, v22, s22, -v47
	v_mov_b32_e32 v55, v54
	v_add_f32_e32 v44, v47, v44
	v_fma_f32 v47, v42, s23, -v50
	v_fmac_f32_e32 v55, 0x3f62ad3f, v48
	v_add_f32_e32 v44, v47, v44
	v_fma_f32 v47, v45, s18, -v53
	v_add_f32_e32 v19, v55, v19
	v_mul_f32_e32 v55, 0xbf6f5d39, v52
	v_add_f32_e32 v44, v47, v44
	v_fma_f32 v47, v48, s20, -v54
	v_add_f32_e32 v44, v47, v44
	v_fma_f32 v47, v51, s21, -v55
	v_add_f32_e32 v44, v47, v44
	v_mul_f32_e32 v47, 0xbf6f5d39, v21
	v_mov_b32_e32 v50, v47
	v_mul_f32_e32 v53, 0x3f29c268, v23
	v_fmac_f32_e32 v50, 0xbeb58ec6, v20
	v_mov_b32_e32 v54, v53
	v_add_f32_e32 v50, v5, v50
	v_fmac_f32_e32 v54, 0xbf3f9e67, v22
	v_add_f32_e32 v50, v54, v50
	v_mul_f32_e32 v54, 0x3eedf032, v43
	v_mov_b32_e32 v56, v55
	v_mov_b32_e32 v55, v54
	v_fmac_f32_e32 v55, 0x3f62ad3f, v42
	v_fmac_f32_e32 v56, 0xbeb58ec6, v51
	v_add_f32_e32 v50, v55, v50
	v_mul_f32_e32 v55, 0xbf7e222b, v46
	v_add_f32_e32 v19, v56, v19
	v_mov_b32_e32 v56, v55
	v_fmac_f32_e32 v56, 0x3df6dbef, v45
	v_fma_f32 v47, v20, s21, -v47
	v_add_f32_e32 v50, v56, v50
	v_mul_f32_e32 v56, 0x3e750f2a, v49
	v_add_f32_e32 v47, v5, v47
	v_fma_f32 v53, v22, s19, -v53
	v_mov_b32_e32 v57, v56
	v_add_f32_e32 v47, v53, v47
	v_fma_f32 v53, v42, s20, -v54
	v_fmac_f32_e32 v57, 0xbf788fa5, v48
	v_add_f32_e32 v47, v53, v47
	v_fma_f32 v53, v45, s22, -v55
	v_add_f32_e32 v50, v57, v50
	v_mul_f32_e32 v57, 0x3f52af12, v52
	v_add_f32_e32 v47, v53, v47
	v_fma_f32 v53, v48, s18, -v56
	v_add_f32_e32 v47, v53, v47
	v_fma_f32 v53, v51, s23, -v57
	v_add_f32_e32 v47, v53, v47
	v_mul_f32_e32 v53, 0xbf7e222b, v21
	;; [unrolled: 36-line block ×3, first 2 shown]
	v_mov_b32_e32 v56, v55
	v_mul_f32_e32 v57, 0xbf6f5d39, v23
	v_fmac_f32_e32 v56, 0x3f116cb1, v20
	v_mov_b32_e32 v58, v57
	v_add_f32_e32 v56, v5, v56
	v_fmac_f32_e32 v58, 0xbeb58ec6, v22
	v_add_f32_e32 v56, v58, v56
	v_mul_f32_e32 v58, 0xbe750f2a, v43
	v_mov_b32_e32 v60, v59
	v_mov_b32_e32 v59, v58
	v_fmac_f32_e32 v59, 0xbf788fa5, v42
	v_fmac_f32_e32 v60, 0xbf3f9e67, v51
	v_add_f32_e32 v56, v59, v56
	v_mul_f32_e32 v59, 0x3f29c268, v46
	v_add_f32_e32 v54, v60, v54
	v_mov_b32_e32 v60, v59
	v_fmac_f32_e32 v60, 0xbf3f9e67, v45
	v_fma_f32 v55, v20, s23, -v55
	v_add_f32_e32 v56, v60, v56
	v_mul_f32_e32 v60, 0x3f7e222b, v49
	v_add_f32_e32 v55, v5, v55
	v_fma_f32 v57, v22, s21, -v57
	v_mov_b32_e32 v61, v60
	v_add_f32_e32 v55, v57, v55
	v_fma_f32 v57, v42, s18, -v58
	v_fmac_f32_e32 v61, 0x3df6dbef, v48
	v_add_f32_e32 v55, v57, v55
	v_fma_f32 v57, v45, s19, -v59
	v_add_f32_e32 v56, v61, v56
	v_mul_f32_e32 v61, 0x3eedf032, v52
	v_add_f32_e32 v55, v57, v55
	v_fma_f32 v57, v48, s22, -v60
	v_add_f32_e32 v55, v57, v55
	v_fma_f32 v57, v51, s20, -v61
	v_mul_f32_e32 v21, 0xbeedf032, v21
	v_add_f32_e32 v55, v57, v55
	v_mov_b32_e32 v57, v21
	v_fmac_f32_e32 v57, 0x3f62ad3f, v20
	v_fma_f32 v20, v20, s20, -v21
	v_add_f32_e32 v57, v5, v57
	v_add_f32_e32 v20, v5, v20
	;; [unrolled: 1-line block ×3, first 2 shown]
	v_mul_f32_e32 v23, 0xbf52af12, v23
	v_add_f32_e32 v5, v5, v7
	v_mov_b32_e32 v58, v23
	v_add_f32_e32 v5, v5, v8
	v_fmac_f32_e32 v58, 0x3f116cb1, v22
	v_mul_f32_e32 v43, 0xbf7e222b, v43
	v_fma_f32 v21, v22, s23, -v23
	v_add_f32_e32 v5, v5, v9
	v_add_f32_e32 v57, v58, v57
	v_mov_b32_e32 v58, v43
	v_mul_f32_e32 v46, 0xbf6f5d39, v46
	v_add_f32_e32 v20, v21, v20
	v_fma_f32 v21, v42, s22, -v43
	v_add_f32_e32 v5, v5, v10
	v_fmac_f32_e32 v58, 0x3df6dbef, v42
	v_mul_f32_e32 v49, 0xbf29c268, v49
	v_add_f32_e32 v20, v21, v20
	v_fma_f32 v21, v45, s21, -v46
	v_add_f32_e32 v5, v5, v11
	v_add_f32_e32 v57, v58, v57
	v_mov_b32_e32 v58, v46
	v_mul_f32_e32 v52, 0xbe750f2a, v52
	v_add_f32_e32 v20, v21, v20
	v_fma_f32 v21, v48, s19, -v49
	v_add_f32_e32 v5, v5, v12
	v_fmac_f32_e32 v58, 0xbeb58ec6, v45
	v_add_f32_e32 v20, v21, v20
	v_fma_f32 v21, v51, s18, -v52
	v_add_f32_e32 v5, v5, v13
	v_add_f32_e32 v57, v58, v57
	v_mov_b32_e32 v58, v49
	v_add_f32_e32 v20, v21, v20
	v_add_f32_e32 v5, v5, v14
	v_mul_u32_u24_e32 v21, 26, v6
	v_fmac_f32_e32 v58, 0xbf3f9e67, v48
	v_add_f32_e32 v5, v5, v35
	v_or_b32_e32 v21, v21, v31
	v_mov_b32_e32 v62, v61
	v_add_f32_e32 v57, v58, v57
	v_mov_b32_e32 v58, v52
	v_add_f32_e32 v5, v5, v37
	v_lshlrev_b32_e32 v21, 5, v21
	v_fmac_f32_e32 v62, 0x3f62ad3f, v51
	v_fmac_f32_e32 v58, 0xbf788fa5, v51
	v_add_f32_e32 v5, v5, v40
	v_add3_u32 v21, 0, v21, v30
	v_add_f32_e32 v56, v62, v56
	v_add_f32_e32 v57, v58, v57
	ds_write2_b32 v21, v5, v20 offset1:16
	ds_write2_b32 v21, v55, v53 offset0:32 offset1:48
	ds_write2_b32 v21, v47, v44 offset0:64 offset1:80
	;; [unrolled: 1-line block ×5, first 2 shown]
	ds_write_b32 v21, v57 offset:768
.LBB0_16:
	s_or_b64 exec, exec, s[10:11]
	v_lshlrev_b32_e32 v4, 5, v28
	v_add3_u32 v18, 0, v4, v30
	v_add_u32_e32 v20, 0x600, v18
	v_lshlrev_b32_e32 v19, 5, v29
	s_waitcnt lgkmcnt(0)
	s_barrier
	ds_read2_b32 v[4:5], v20 offset0:32 offset1:240
	v_add3_u32 v19, 0, v19, v30
	ds_read_b32 v22, v18
	ds_read_b32 v21, v19
	s_waitcnt lgkmcnt(0)
	s_barrier
	s_and_saveexec_b64 s[10:11], vcc
	s_cbranch_execz .LBB0_18
; %bb.17:
	v_add_f32_e32 v23, v3, v41
	v_add_f32_e32 v23, v23, v38
	v_add_f32_e32 v23, v23, v24
	v_add_f32_e32 v23, v23, v25
	v_add_f32_e32 v23, v23, v15
	v_add_f32_e32 v23, v23, v26
	v_add_f32_e32 v23, v23, v16
	v_add_f32_e32 v23, v23, v32
	v_add_f32_e32 v23, v23, v33
	v_add_f32_e32 v23, v23, v34
	v_sub_f32_e32 v17, v17, v40
	v_add_f32_e32 v23, v23, v36
	v_mul_f32_e32 v40, 0xbeedf032, v17
	v_mul_f32_e32 v42, 0xbf52af12, v17
	;; [unrolled: 1-line block ×6, first 2 shown]
	v_add_f32_e32 v23, v23, v39
	v_add_f32_e32 v39, v41, v39
	s_mov_b32 s20, 0x3f62ad3f
	s_mov_b32 s19, 0x3f116cb1
	;; [unrolled: 1-line block ×6, first 2 shown]
	v_mov_b32_e32 v50, v17
	v_fma_f32 v41, v39, s20, -v40
	v_fmac_f32_e32 v40, 0x3f62ad3f, v39
	v_fma_f32 v43, v39, s19, -v42
	v_fmac_f32_e32 v42, 0x3f116cb1, v39
	;; [unrolled: 2-line block ×5, first 2 shown]
	v_fmac_f32_e32 v50, 0xbf788fa5, v39
	v_fma_f32 v17, v39, s23, -v17
	v_sub_f32_e32 v7, v7, v37
	v_add_f32_e32 v40, v3, v40
	v_add_f32_e32 v41, v3, v41
	;; [unrolled: 1-line block ×13, first 2 shown]
	v_mul_f32_e32 v36, 0xbf52af12, v7
	v_fma_f32 v37, v17, s19, -v36
	v_fmac_f32_e32 v36, 0x3f116cb1, v17
	v_mul_f32_e32 v38, 0xbf6f5d39, v7
	v_add_f32_e32 v36, v36, v40
	v_fma_f32 v39, v17, s21, -v38
	v_fmac_f32_e32 v38, 0xbeb58ec6, v17
	v_mul_f32_e32 v40, 0xbe750f2a, v7
	v_add_f32_e32 v37, v37, v41
	v_add_f32_e32 v38, v38, v42
	v_fma_f32 v41, v17, s23, -v40
	v_fmac_f32_e32 v40, 0xbf788fa5, v17
	v_mul_f32_e32 v42, 0x3f29c268, v7
	v_add_f32_e32 v39, v39, v43
	v_add_f32_e32 v40, v40, v44
	v_fma_f32 v43, v17, s22, -v42
	v_fmac_f32_e32 v42, 0xbf3f9e67, v17
	v_mul_f32_e32 v44, 0x3f7e222b, v7
	v_mul_f32_e32 v7, 0x3eedf032, v7
	v_add_f32_e32 v42, v42, v46
	v_mov_b32_e32 v46, v7
	v_fma_f32 v7, v17, s20, -v7
	v_sub_f32_e32 v8, v8, v35
	v_add_f32_e32 v41, v41, v45
	v_fma_f32 v45, v17, s18, -v44
	v_fmac_f32_e32 v44, 0x3df6dbef, v17
	v_fmac_f32_e32 v46, 0x3f62ad3f, v17
	v_add_f32_e32 v3, v7, v3
	v_add_f32_e32 v7, v24, v34
	v_mul_f32_e32 v17, 0xbf7e222b, v8
	v_fma_f32 v24, v7, s18, -v17
	v_fmac_f32_e32 v17, 0x3df6dbef, v7
	v_mul_f32_e32 v34, 0xbe750f2a, v8
	v_add_f32_e32 v17, v17, v36
	v_fma_f32 v35, v7, s23, -v34
	v_fmac_f32_e32 v34, 0xbf788fa5, v7
	v_mul_f32_e32 v36, 0x3f6f5d39, v8
	v_add_f32_e32 v24, v24, v37
	v_add_f32_e32 v34, v34, v38
	v_fma_f32 v37, v7, s21, -v36
	v_fmac_f32_e32 v36, 0xbeb58ec6, v7
	v_mul_f32_e32 v38, 0x3eedf032, v8
	v_add_f32_e32 v35, v35, v39
	v_add_f32_e32 v36, v36, v40
	v_fma_f32 v39, v7, s20, -v38
	v_fmac_f32_e32 v38, 0x3f62ad3f, v7
	v_mul_f32_e32 v40, 0xbf52af12, v8
	v_mul_f32_e32 v8, 0xbf29c268, v8
	v_add_f32_e32 v38, v38, v42
	v_mov_b32_e32 v42, v8
	v_add_f32_e32 v37, v37, v41
	v_fma_f32 v41, v7, s19, -v40
	v_fmac_f32_e32 v40, 0x3f116cb1, v7
	v_fmac_f32_e32 v42, 0xbf3f9e67, v7
	v_fma_f32 v7, v7, s22, -v8
	v_sub_f32_e32 v8, v9, v14
	v_add_f32_e32 v3, v7, v3
	v_add_f32_e32 v7, v25, v33
	v_mul_f32_e32 v9, 0xbf6f5d39, v8
	v_fma_f32 v14, v7, s21, -v9
	v_fmac_f32_e32 v9, 0xbeb58ec6, v7
	v_add_f32_e32 v9, v9, v17
	v_mul_f32_e32 v17, 0x3f29c268, v8
	v_add_f32_e32 v14, v14, v24
	v_fma_f32 v24, v7, s22, -v17
	v_fmac_f32_e32 v17, 0xbf3f9e67, v7
	v_mul_f32_e32 v25, 0x3eedf032, v8
	v_add_f32_e32 v17, v17, v34
	v_fma_f32 v33, v7, s20, -v25
	v_fmac_f32_e32 v25, 0x3f62ad3f, v7
	v_mul_f32_e32 v34, 0xbf7e222b, v8
	v_add_f32_e32 v24, v24, v35
	v_add_f32_e32 v25, v25, v36
	v_fma_f32 v35, v7, s18, -v34
	v_fmac_f32_e32 v34, 0x3df6dbef, v7
	v_mul_f32_e32 v36, 0x3e750f2a, v8
	v_mul_f32_e32 v8, 0x3f52af12, v8
	v_add_f32_e32 v34, v34, v38
	v_mov_b32_e32 v38, v8
	v_add_f32_e32 v33, v33, v37
	v_fma_f32 v37, v7, s23, -v36
	v_fmac_f32_e32 v36, 0xbf788fa5, v7
	v_fmac_f32_e32 v38, 0x3f116cb1, v7
	v_fma_f32 v7, v7, s19, -v8
	v_sub_f32_e32 v8, v10, v13
	v_add_f32_e32 v3, v7, v3
	v_add_f32_e32 v7, v15, v32
	v_mul_f32_e32 v10, 0xbf29c268, v8
	v_fma_f32 v13, v7, s22, -v10
	v_fmac_f32_e32 v10, 0xbf3f9e67, v7
	v_add_f32_e32 v9, v10, v9
	v_add_f32_e32 v10, v13, v14
	v_mul_f32_e32 v13, 0x3f7e222b, v8
	v_fma_f32 v14, v7, s18, -v13
	v_fmac_f32_e32 v13, 0x3df6dbef, v7
	v_mul_f32_e32 v15, 0xbf52af12, v8
	v_add_f32_e32 v13, v13, v17
	v_add_f32_e32 v14, v14, v24
	v_fma_f32 v17, v7, s19, -v15
	v_fmac_f32_e32 v15, 0x3f116cb1, v7
	v_mul_f32_e32 v24, 0x3e750f2a, v8
	v_add_f32_e32 v15, v15, v25
	v_fma_f32 v25, v7, s23, -v24
	v_fmac_f32_e32 v24, 0xbf788fa5, v7
	v_mul_f32_e32 v32, 0x3eedf032, v8
	v_mul_f32_e32 v8, 0xbf6f5d39, v8
	v_add_f32_e32 v24, v24, v34
	v_mov_b32_e32 v34, v8
	v_add_f32_e32 v17, v17, v33
	v_fma_f32 v33, v7, s20, -v32
	v_fmac_f32_e32 v32, 0x3f62ad3f, v7
	v_fmac_f32_e32 v34, 0xbeb58ec6, v7
	v_fma_f32 v7, v7, s21, -v8
	v_sub_f32_e32 v8, v11, v12
	v_add_f32_e32 v3, v7, v3
	v_add_f32_e32 v7, v26, v16
	v_mul_f32_e32 v11, 0xbe750f2a, v8
	v_fma_f32 v12, v7, s23, -v11
	v_fmac_f32_e32 v11, 0xbf788fa5, v7
	v_add_f32_e32 v9, v11, v9
	v_mul_f32_e32 v11, 0x3eedf032, v8
	v_add_f32_e32 v10, v12, v10
	v_fma_f32 v12, v7, s20, -v11
	v_fmac_f32_e32 v11, 0x3f62ad3f, v7
	v_add_f32_e32 v43, v43, v47
	v_add_f32_e32 v11, v11, v13
	v_mul_f32_e32 v13, 0xbf29c268, v8
	v_add_f32_e32 v39, v39, v43
	v_add_f32_e32 v12, v12, v14
	v_fma_f32 v14, v7, s22, -v13
	v_fmac_f32_e32 v13, 0xbf3f9e67, v7
	v_add_f32_e32 v44, v44, v48
	v_add_f32_e32 v45, v45, v49
	;; [unrolled: 1-line block ×5, first 2 shown]
	v_mul_f32_e32 v15, 0x3f52af12, v8
	v_mul_u32_u24_e32 v6, 26, v6
	v_add_f32_e32 v40, v40, v44
	v_add_f32_e32 v41, v41, v45
	;; [unrolled: 1-line block ×5, first 2 shown]
	v_fma_f32 v16, v7, s19, -v15
	v_mul_f32_e32 v17, 0xbf6f5d39, v8
	v_mul_f32_e32 v8, 0x3f7e222b, v8
	v_or_b32_e32 v6, v6, v31
	v_add_f32_e32 v36, v36, v40
	v_add_f32_e32 v37, v37, v41
	;; [unrolled: 1-line block ×3, first 2 shown]
	v_fmac_f32_e32 v15, 0x3f116cb1, v7
	v_add_f32_e32 v16, v16, v25
	v_mov_b32_e32 v25, v8
	v_lshlrev_b32_e32 v6, 5, v6
	v_add_f32_e32 v32, v32, v36
	v_add_f32_e32 v33, v33, v37
	;; [unrolled: 1-line block ×4, first 2 shown]
	v_fma_f32 v24, v7, s21, -v17
	v_fmac_f32_e32 v17, 0xbeb58ec6, v7
	v_fmac_f32_e32 v25, 0x3df6dbef, v7
	v_fma_f32 v7, v7, s18, -v8
	v_add3_u32 v6, 0, v6, v30
	v_add_f32_e32 v17, v17, v32
	v_add_f32_e32 v24, v24, v33
	;; [unrolled: 1-line block ×4, first 2 shown]
	ds_write2_b32 v6, v23, v9 offset1:16
	ds_write2_b32 v6, v11, v13 offset0:32 offset1:48
	ds_write2_b32 v6, v15, v17 offset0:64 offset1:80
	;; [unrolled: 1-line block ×5, first 2 shown]
	ds_write_b32 v6, v10 offset:768
.LBB0_18:
	s_or_b64 exec, exec, s[10:11]
	s_movk_i32 s10, 0x4f
	v_mul_lo_u16_e32 v3, 10, v28
	v_mov_b32_e32 v6, 26
	v_mul_lo_u16_sdwa v7, v29, s10 dst_sel:DWORD dst_unused:UNUSED_PAD src0_sel:BYTE_0 src1_sel:DWORD
	v_mul_lo_u16_sdwa v6, v3, v6 dst_sel:DWORD dst_unused:UNUSED_PAD src0_sel:BYTE_1 src1_sel:DWORD
	v_lshrrev_b16_e32 v14, 11, v7
	v_sub_u16_e32 v6, v28, v6
	v_mul_lo_u16_e32 v10, 26, v14
	v_and_b32_e32 v6, 0xff, v6
	v_sub_u16_e32 v10, v29, v10
	v_lshlrev_b32_e32 v8, 3, v6
	v_and_b32_e32 v15, 0xff, v10
	s_waitcnt lgkmcnt(0)
	s_barrier
	global_load_dwordx2 v[8:9], v8, s[6:7] offset:192
	v_lshlrev_b32_e32 v10, 3, v15
	global_load_dwordx2 v[10:11], v10, s[6:7] offset:192
	v_mov_b32_e32 v23, 52
	ds_read2_b32 v[12:13], v20 offset0:32 offset1:240
	ds_read_b32 v16, v18
	ds_read_b32 v17, v19
	v_mul_u32_u24_sdwa v3, v3, v23 dst_sel:DWORD dst_unused:UNUSED_PAD src0_sel:BYTE_1 src1_sel:DWORD
	v_mul_u32_u24_e32 v14, 52, v14
	v_add_lshl_u32 v3, v3, v6, 5
	v_add3_u32 v23, 0, v3, v30
	v_add_lshl_u32 v3, v14, v15, 5
	v_add3_u32 v14, 0, v3, v30
	s_waitcnt vmcnt(0) lgkmcnt(0)
	s_barrier
	v_cmp_gt_u64_e32 vcc, s[16:17], v[1:2]
	s_or_b64 s[0:1], s[0:1], vcc
	v_mul_f32_e32 v3, v12, v9
	v_mul_f32_e32 v6, v4, v9
	v_fma_f32 v3, v4, v8, -v3
	v_mul_f32_e32 v4, v13, v11
	v_sub_f32_e32 v3, v22, v3
	v_fma_f32 v4, v5, v10, -v4
	v_fmac_f32_e32 v6, v12, v8
	v_mul_f32_e32 v8, v5, v11
	v_fma_f32 v5, v22, 2.0, -v3
	v_sub_f32_e32 v4, v21, v4
	ds_write2_b32 v23, v5, v3 offset1:208
	v_fma_f32 v3, v21, 2.0, -v4
	v_sub_f32_e32 v9, v16, v6
	ds_write2_b32 v14, v3, v4 offset1:208
	s_waitcnt lgkmcnt(0)
	s_barrier
	ds_read2_b32 v[3:4], v20 offset0:32 offset1:240
	ds_read_b32 v6, v18
	ds_read_b32 v5, v19
	v_fmac_f32_e32 v8, v13, v10
	v_fma_f32 v10, v16, 2.0, -v9
	v_sub_f32_e32 v8, v17, v8
	v_fma_f32 v11, v17, 2.0, -v8
	s_waitcnt lgkmcnt(0)
	s_barrier
	ds_write2_b32 v23, v10, v9 offset1:208
	ds_write2_b32 v14, v11, v8 offset1:208
	s_waitcnt lgkmcnt(0)
	s_barrier
	s_and_saveexec_b64 s[10:11], s[0:1]
	s_cbranch_execz .LBB0_20
; %bb.19:
	v_lshrrev_b16_e32 v2, 12, v7
	v_mul_lo_u16_e32 v2, 52, v2
	v_sub_u16_e32 v2, v29, v2
	v_and_b32_e32 v36, 0xff, v2
	v_and_b32_e32 v0, 0xf8, v0
	v_add_u32_e32 v37, 52, v28
	s_load_dwordx2 s[0:1], s[4:5], 0x8
	global_load_dwordx2 v[7:8], v0, s[6:7] offset:400
	v_lshlrev_b32_e32 v0, 3, v36
	v_mul_lo_u32 v2, v1, v37
	global_load_dwordx2 v[9:10], v0, s[6:7] offset:400
	v_mul_lo_u32 v0, v1, v28
	v_mov_b32_e32 v17, 3
	v_lshlrev_b32_sdwa v22, v17, v2 dst_sel:DWORD dst_unused:UNUSED_PAD src0_sel:DWORD src1_sel:BYTE_0
	v_lshlrev_b32_sdwa v2, v17, v2 dst_sel:DWORD dst_unused:UNUSED_PAD src0_sel:DWORD src1_sel:BYTE_1
	v_lshlrev_b32_sdwa v23, v17, v0 dst_sel:DWORD dst_unused:UNUSED_PAD src0_sel:DWORD src1_sel:BYTE_0
	v_lshlrev_b32_sdwa v0, v17, v0 dst_sel:DWORD dst_unused:UNUSED_PAD src0_sel:DWORD src1_sel:BYTE_1
	s_waitcnt lgkmcnt(0)
	global_load_dwordx2 v[11:12], v22, s[0:1]
	global_load_dwordx2 v[13:14], v2, s[0:1] offset:2048
	global_load_dwordx2 v[15:16], v23, s[0:1]
	global_load_dwordx2 v[20:21], v0, s[0:1] offset:2048
	v_add_u32_e32 v2, 52, v36
	v_mul_lo_u32 v0, v1, v36
	v_mul_lo_u32 v1, v1, v2
	v_lshlrev_b32_sdwa v2, v17, v0 dst_sel:DWORD dst_unused:UNUSED_PAD src0_sel:DWORD src1_sel:BYTE_0
	v_lshlrev_b32_sdwa v32, v17, v1 dst_sel:DWORD dst_unused:UNUSED_PAD src0_sel:DWORD src1_sel:BYTE_0
	v_lshlrev_b32_sdwa v26, v17, v0 dst_sel:DWORD dst_unused:UNUSED_PAD src0_sel:DWORD src1_sel:BYTE_1
	v_lshlrev_b32_sdwa v17, v17, v1 dst_sel:DWORD dst_unused:UNUSED_PAD src0_sel:DWORD src1_sel:BYTE_1
	global_load_dwordx2 v[0:1], v32, s[0:1]
	global_load_dwordx2 v[22:23], v17, s[0:1] offset:2048
	global_load_dwordx2 v[24:25], v2, s[0:1]
	global_load_dwordx2 v[30:31], v26, s[0:1] offset:2048
	v_add_u32_e32 v2, 0x600, v18
	v_mad_u64_u32 v[32:33], s[0:1], s8, v27, 0
	ds_read_b32 v38, v19
	ds_read_b32 v39, v18
	ds_read2_b32 v[17:18], v2 offset0:32 offset1:240
	v_mad_u64_u32 v[34:35], s[0:1], s12, v28, 0
	v_mov_b32_e32 v2, v33
	v_mad_u64_u32 v[26:27], s[0:1], s9, v27, v[2:3]
	v_mov_b32_e32 v19, v35
	v_mov_b32_e32 v33, v26
	s_waitcnt vmcnt(9)
	v_mul_f32_e32 v2, v3, v8
	s_waitcnt lgkmcnt(0)
	v_mul_f32_e32 v8, v17, v8
	v_fma_f32 v3, v3, v7, -v8
	v_fmac_f32_e32 v2, v17, v7
	v_sub_f32_e32 v7, v6, v3
	s_waitcnt vmcnt(8)
	v_mul_f32_e32 v3, v4, v10
	v_mul_f32_e32 v10, v18, v10
	v_sub_f32_e32 v2, v39, v2
	v_fma_f32 v4, v4, v9, -v10
	s_waitcnt vmcnt(6)
	v_mul_f32_e32 v10, v11, v14
	s_waitcnt vmcnt(4)
	v_mul_f32_e32 v17, v15, v21
	v_mad_u64_u32 v[27:28], s[0:1], s13, v28, v[19:20]
	v_fma_f32 v8, v39, 2.0, -v2
	v_fma_f32 v6, v6, 2.0, -v7
	v_fmac_f32_e32 v3, v18, v9
	v_mul_f32_e32 v9, v12, v14
	v_mul_f32_e32 v14, v16, v21
	v_sub_f32_e32 v19, v5, v4
	v_fmac_f32_e32 v10, v12, v13
	v_fmac_f32_e32 v17, v16, v20
	v_sub_f32_e32 v18, v38, v3
	v_fma_f32 v4, v11, v13, -v9
	v_fma_f32 v9, v15, v20, -v14
	v_fma_f32 v12, v5, 2.0, -v19
	v_mul_f32_e32 v3, v7, v10
	v_mul_f32_e32 v10, v2, v10
	;; [unrolled: 1-line block ×4, first 2 shown]
	v_fmac_f32_e32 v3, v2, v4
	v_fma_f32 v2, v7, v4, -v10
	v_fmac_f32_e32 v5, v8, v9
	v_fma_f32 v4, v6, v9, -v13
	s_waitcnt vmcnt(2)
	v_mul_f32_e32 v7, v0, v23
	s_waitcnt vmcnt(0)
	v_mul_f32_e32 v9, v24, v31
	s_lshl_b64 s[0:1], s[2:3], 3
	v_fma_f32 v11, v38, 2.0, -v18
	v_mul_f32_e32 v6, v1, v23
	v_mul_f32_e32 v8, v25, v31
	v_fmac_f32_e32 v7, v1, v22
	v_fmac_f32_e32 v9, v25, v30
	s_add_u32 s2, s14, s0
	v_fma_f32 v0, v0, v22, -v6
	v_fma_f32 v6, v24, v30, -v8
	v_mul_f32_e32 v1, v19, v7
	v_mul_f32_e32 v8, v18, v7
	;; [unrolled: 1-line block ×4, first 2 shown]
	s_addc_u32 s0, s15, s1
	v_fmac_f32_e32 v1, v18, v0
	v_fma_f32 v0, v19, v0, -v8
	v_fmac_f32_e32 v7, v11, v6
	v_fma_f32 v6, v12, v6, -v9
	v_lshlrev_b64 v[8:9], 3, v[32:33]
	v_mov_b32_e32 v12, s0
	v_mad_u64_u32 v[10:11], s[0:1], s12, v37, 0
	v_mov_b32_e32 v35, v27
	v_add_co_u32_e32 v13, vcc, s2, v8
	v_addc_co_u32_e32 v14, vcc, v12, v9, vcc
	v_lshlrev_b64 v[8:9], 3, v[34:35]
	v_mad_u64_u32 v[11:12], s[0:1], s13, v37, v[11:12]
	v_add_co_u32_e32 v8, vcc, v13, v8
	v_addc_co_u32_e32 v9, vcc, v14, v9, vcc
	global_store_dwordx2 v[8:9], v[4:5], off
	v_sub_u32_e32 v8, v29, v36
	v_lshlrev_b64 v[4:5], 3, v[10:11]
	v_add_u32_e32 v11, v8, v29
	v_mad_u64_u32 v[8:9], s[0:1], s12, v11, 0
	v_add_u32_e32 v12, 52, v11
	v_add_co_u32_e32 v4, vcc, v13, v4
	v_mad_u64_u32 v[9:10], s[0:1], s13, v11, v[9:10]
	v_mad_u64_u32 v[10:11], s[0:1], s12, v12, 0
	v_addc_co_u32_e32 v5, vcc, v14, v5, vcc
	global_store_dwordx2 v[4:5], v[2:3], off
	v_mov_b32_e32 v4, v11
	v_mad_u64_u32 v[4:5], s[0:1], s13, v12, v[4:5]
	v_lshlrev_b64 v[2:3], 3, v[8:9]
	v_add_co_u32_e32 v2, vcc, v13, v2
	v_addc_co_u32_e32 v3, vcc, v14, v3, vcc
	v_mov_b32_e32 v11, v4
	global_store_dwordx2 v[2:3], v[6:7], off
	v_lshlrev_b64 v[2:3], 3, v[10:11]
	v_add_co_u32_e32 v2, vcc, v13, v2
	v_addc_co_u32_e32 v3, vcc, v14, v3, vcc
	global_store_dwordx2 v[2:3], v[0:1], off
.LBB0_20:
	s_endpgm
	.section	.rodata,"a",@progbits
	.p2align	6, 0x0
	.amdhsa_kernel fft_rtc_fwd_len104_factors_2_13_2_2_wgs_208_tpt_26_halfLds_dim2_sp_ip_CI_sbcc_twdbase8_2step_dirReg
		.amdhsa_group_segment_fixed_size 0
		.amdhsa_private_segment_fixed_size 0
		.amdhsa_kernarg_size 88
		.amdhsa_user_sgpr_count 6
		.amdhsa_user_sgpr_private_segment_buffer 1
		.amdhsa_user_sgpr_dispatch_ptr 0
		.amdhsa_user_sgpr_queue_ptr 0
		.amdhsa_user_sgpr_kernarg_segment_ptr 1
		.amdhsa_user_sgpr_dispatch_id 0
		.amdhsa_user_sgpr_flat_scratch_init 0
		.amdhsa_user_sgpr_private_segment_size 0
		.amdhsa_uses_dynamic_stack 0
		.amdhsa_system_sgpr_private_segment_wavefront_offset 0
		.amdhsa_system_sgpr_workgroup_id_x 1
		.amdhsa_system_sgpr_workgroup_id_y 0
		.amdhsa_system_sgpr_workgroup_id_z 0
		.amdhsa_system_sgpr_workgroup_info 0
		.amdhsa_system_vgpr_workitem_id 0
		.amdhsa_next_free_vgpr 65
		.amdhsa_next_free_sgpr 24
		.amdhsa_reserve_vcc 1
		.amdhsa_reserve_flat_scratch 0
		.amdhsa_float_round_mode_32 0
		.amdhsa_float_round_mode_16_64 0
		.amdhsa_float_denorm_mode_32 3
		.amdhsa_float_denorm_mode_16_64 3
		.amdhsa_dx10_clamp 1
		.amdhsa_ieee_mode 1
		.amdhsa_fp16_overflow 0
		.amdhsa_exception_fp_ieee_invalid_op 0
		.amdhsa_exception_fp_denorm_src 0
		.amdhsa_exception_fp_ieee_div_zero 0
		.amdhsa_exception_fp_ieee_overflow 0
		.amdhsa_exception_fp_ieee_underflow 0
		.amdhsa_exception_fp_ieee_inexact 0
		.amdhsa_exception_int_div_zero 0
	.end_amdhsa_kernel
	.text
.Lfunc_end0:
	.size	fft_rtc_fwd_len104_factors_2_13_2_2_wgs_208_tpt_26_halfLds_dim2_sp_ip_CI_sbcc_twdbase8_2step_dirReg, .Lfunc_end0-fft_rtc_fwd_len104_factors_2_13_2_2_wgs_208_tpt_26_halfLds_dim2_sp_ip_CI_sbcc_twdbase8_2step_dirReg
                                        ; -- End function
	.section	.AMDGPU.csdata,"",@progbits
; Kernel info:
; codeLenInByte = 5684
; NumSgprs: 28
; NumVgprs: 65
; ScratchSize: 0
; MemoryBound: 0
; FloatMode: 240
; IeeeMode: 1
; LDSByteSize: 0 bytes/workgroup (compile time only)
; SGPRBlocks: 3
; VGPRBlocks: 16
; NumSGPRsForWavesPerEU: 28
; NumVGPRsForWavesPerEU: 65
; Occupancy: 3
; WaveLimiterHint : 1
; COMPUTE_PGM_RSRC2:SCRATCH_EN: 0
; COMPUTE_PGM_RSRC2:USER_SGPR: 6
; COMPUTE_PGM_RSRC2:TRAP_HANDLER: 0
; COMPUTE_PGM_RSRC2:TGID_X_EN: 1
; COMPUTE_PGM_RSRC2:TGID_Y_EN: 0
; COMPUTE_PGM_RSRC2:TGID_Z_EN: 0
; COMPUTE_PGM_RSRC2:TIDIG_COMP_CNT: 0
	.type	__hip_cuid_33d7c3646ab01b23,@object ; @__hip_cuid_33d7c3646ab01b23
	.section	.bss,"aw",@nobits
	.globl	__hip_cuid_33d7c3646ab01b23
__hip_cuid_33d7c3646ab01b23:
	.byte	0                               ; 0x0
	.size	__hip_cuid_33d7c3646ab01b23, 1

	.ident	"AMD clang version 19.0.0git (https://github.com/RadeonOpenCompute/llvm-project roc-6.4.0 25133 c7fe45cf4b819c5991fe208aaa96edf142730f1d)"
	.section	".note.GNU-stack","",@progbits
	.addrsig
	.addrsig_sym __hip_cuid_33d7c3646ab01b23
	.amdgpu_metadata
---
amdhsa.kernels:
  - .args:
      - .actual_access:  read_only
        .address_space:  global
        .offset:         0
        .size:           8
        .value_kind:     global_buffer
      - .address_space:  global
        .offset:         8
        .size:           8
        .value_kind:     global_buffer
      - .actual_access:  read_only
        .address_space:  global
        .offset:         16
        .size:           8
        .value_kind:     global_buffer
      - .actual_access:  read_only
        .address_space:  global
        .offset:         24
        .size:           8
        .value_kind:     global_buffer
      - .offset:         32
        .size:           8
        .value_kind:     by_value
      - .actual_access:  read_only
        .address_space:  global
        .offset:         40
        .size:           8
        .value_kind:     global_buffer
      - .actual_access:  read_only
        .address_space:  global
        .offset:         48
        .size:           8
        .value_kind:     global_buffer
      - .offset:         56
        .size:           4
        .value_kind:     by_value
      - .actual_access:  read_only
        .address_space:  global
        .offset:         64
        .size:           8
        .value_kind:     global_buffer
      - .actual_access:  read_only
        .address_space:  global
        .offset:         72
        .size:           8
        .value_kind:     global_buffer
      - .address_space:  global
        .offset:         80
        .size:           8
        .value_kind:     global_buffer
    .group_segment_fixed_size: 0
    .kernarg_segment_align: 8
    .kernarg_segment_size: 88
    .language:       OpenCL C
    .language_version:
      - 2
      - 0
    .max_flat_workgroup_size: 208
    .name:           fft_rtc_fwd_len104_factors_2_13_2_2_wgs_208_tpt_26_halfLds_dim2_sp_ip_CI_sbcc_twdbase8_2step_dirReg
    .private_segment_fixed_size: 0
    .sgpr_count:     28
    .sgpr_spill_count: 0
    .symbol:         fft_rtc_fwd_len104_factors_2_13_2_2_wgs_208_tpt_26_halfLds_dim2_sp_ip_CI_sbcc_twdbase8_2step_dirReg.kd
    .uniform_work_group_size: 1
    .uses_dynamic_stack: false
    .vgpr_count:     65
    .vgpr_spill_count: 0
    .wavefront_size: 64
amdhsa.target:   amdgcn-amd-amdhsa--gfx906
amdhsa.version:
  - 1
  - 2
...

	.end_amdgpu_metadata
